;; amdgpu-corpus repo=ROCm/rocFFT kind=compiled arch=gfx1030 opt=O3
	.text
	.amdgcn_target "amdgcn-amd-amdhsa--gfx1030"
	.amdhsa_code_object_version 6
	.protected	fft_rtc_back_len243_factors_3_3_3_3_3_wgs_243_tpt_81_dim1_dp_ip_CI_sbrr_dirReg ; -- Begin function fft_rtc_back_len243_factors_3_3_3_3_3_wgs_243_tpt_81_dim1_dp_ip_CI_sbrr_dirReg
	.globl	fft_rtc_back_len243_factors_3_3_3_3_3_wgs_243_tpt_81_dim1_dp_ip_CI_sbrr_dirReg
	.p2align	8
	.type	fft_rtc_back_len243_factors_3_3_3_3_3_wgs_243_tpt_81_dim1_dp_ip_CI_sbrr_dirReg,@function
fft_rtc_back_len243_factors_3_3_3_3_3_wgs_243_tpt_81_dim1_dp_ip_CI_sbrr_dirReg: ; @fft_rtc_back_len243_factors_3_3_3_3_3_wgs_243_tpt_81_dim1_dp_ip_CI_sbrr_dirReg
; %bb.0:
	s_load_dwordx4 s[12:15], s[4:5], 0x10
	v_mul_u32_u24_e32 v1, 0x32a, v0
                                        ; implicit-def: $vgpr10_vgpr11
                                        ; implicit-def: $vgpr6_vgpr7
	v_lshrrev_b32_e32 v1, 16, v1
	v_mad_u64_u32 v[12:13], null, s6, 3, v[1:2]
	v_mul_lo_u16 v1, 0x51, v1
	v_mov_b32_e32 v13, 0
	v_sub_nc_u16 v0, v0, v1
	s_waitcnt lgkmcnt(0)
	s_load_dwordx4 s[8:11], s[12:13], 0x0
	s_clause 0x1
	s_load_dwordx2 s[6:7], s[4:5], 0x0
	s_load_dwordx2 s[2:3], s[4:5], 0x48
	v_cmp_gt_u64_e32 vcc_lo, s[14:15], v[12:13]
	v_and_b32_e32 v16, 0xffff, v0
	s_waitcnt lgkmcnt(0)
	v_mad_u64_u32 v[2:3], null, s10, v12, 0
	v_mad_u64_u32 v[3:4], null, s11, v12, v[3:4]
	v_lshlrev_b64 v[14:15], 4, v[2:3]
                                        ; implicit-def: $vgpr2_vgpr3
	s_and_saveexec_b32 s1, vcc_lo
	s_cbranch_execz .LBB0_2
; %bb.1:
	v_add_nc_u32_e32 v8, 0x51, v16
	v_add_nc_u32_e32 v9, 0xa2, v16
	v_mad_u64_u32 v[0:1], null, s8, v16, 0
	v_mov_b32_e32 v13, v16
	v_mad_u64_u32 v[2:3], null, s8, v8, 0
	v_mad_u64_u32 v[4:5], null, s8, v9, 0
	;; [unrolled: 1-line block ×3, first 2 shown]
	v_mov_b32_e32 v1, v3
	v_mov_b32_e32 v3, v5
	v_mad_u64_u32 v[7:8], null, s9, v8, v[1:2]
	v_mad_u64_u32 v[8:9], null, s9, v9, v[3:4]
	v_mov_b32_e32 v1, v6
	v_add_co_u32 v6, s0, s2, v14
	v_mov_b32_e32 v3, v7
	v_lshlrev_b64 v[0:1], 4, v[0:1]
	v_mov_b32_e32 v5, v8
	v_add_co_ci_u32_e64 v7, s0, s3, v15, s0
	v_lshlrev_b64 v[2:3], 4, v[2:3]
	v_lshlrev_b64 v[4:5], 4, v[4:5]
	v_add_co_u32 v0, s0, v6, v0
	v_add_co_ci_u32_e64 v1, s0, v7, v1, s0
	v_add_co_u32 v2, s0, v6, v2
	v_add_co_ci_u32_e64 v3, s0, v7, v3, s0
	;; [unrolled: 2-line block ×3, first 2 shown]
	s_clause 0x2
	global_load_dwordx4 v[4:7], v[0:1], off
	global_load_dwordx4 v[8:11], v[2:3], off
	;; [unrolled: 1-line block ×3, first 2 shown]
.LBB0_2:
	s_or_b32 exec_lo, exec_lo, s1
	s_waitcnt vmcnt(0)
	v_add_f64 v[17:18], v[0:1], v[8:9]
	v_add_f64 v[19:20], v[2:3], v[10:11]
	v_mul_hi_u32 v27, 0xaaaaaaab, v12
	v_add_f64 v[21:22], v[8:9], v[4:5]
	v_add_f64 v[23:24], v[10:11], v[6:7]
	v_add_f64 v[10:11], v[10:11], -v[2:3]
	v_add_f64 v[25:26], v[8:9], -v[0:1]
	s_mov_b32 s0, 0xe8584caa
	s_mov_b32 s1, 0xbfebb67a
	;; [unrolled: 1-line block ×4, first 2 shown]
	v_mov_b32_e32 v31, 5
	v_fma_f64 v[17:18], v[17:18], -0.5, v[4:5]
	v_fma_f64 v[19:20], v[19:20], -0.5, v[6:7]
	v_lshrrev_b32_e32 v4, 1, v27
	v_and_b32_e32 v27, 0xff, v16
	v_add_f64 v[0:1], v[0:1], v[21:22]
	v_add_f64 v[2:3], v[2:3], v[23:24]
	v_lshl_add_u32 v4, v4, 1, v4
	v_sub_nc_u32_e32 v4, v12, v4
	v_mul_lo_u16 v12, 0xab, v27
	v_mul_u32_u24_e32 v21, 0xf3, v4
	v_lshrrev_b16 v28, 9, v12
	v_lshlrev_b32_e32 v29, 4, v21
	v_fma_f64 v[4:5], v[10:11], s[0:1], v[17:18]
	v_fma_f64 v[6:7], v[25:26], s[4:5], v[19:20]
	;; [unrolled: 1-line block ×4, first 2 shown]
	v_mul_lo_u16 v12, v28, 3
	v_add_nc_u32_e32 v30, 0, v29
	v_sub_nc_u16 v32, v16, v12
	v_mad_u32_u24 v12, v16, 48, v30
	ds_write_b128 v12, v[0:3]
	ds_write_b128 v12, v[4:7] offset:16
	ds_write_b128 v12, v[8:11] offset:32
	v_lshlrev_b32_sdwa v17, v31, v32 dst_sel:DWORD dst_unused:UNUSED_PAD src0_sel:DWORD src1_sel:BYTE_0
	s_waitcnt lgkmcnt(0)
	s_barrier
	buffer_gl0_inv
	s_clause 0x1
	global_load_dwordx4 v[3:6], v17, s[6:7]
	global_load_dwordx4 v[7:10], v17, s[6:7] offset:16
	v_lshlrev_b32_e32 v2, 5, v16
	v_lshl_add_u32 v1, v16, 4, v30
	v_mul_lo_u16 v30, v27, 57
	v_mul_lo_u16 v27, v27, 19
	v_sub_nc_u32_e32 v0, v12, v2
	ds_read_b128 v[17:20], v0 offset:1296
	ds_read_b128 v[21:24], v0 offset:2592
	v_lshrrev_b16 v30, 9, v30
	s_waitcnt vmcnt(1) lgkmcnt(1)
	v_mul_f64 v[11:12], v[19:20], v[5:6]
	s_waitcnt vmcnt(0) lgkmcnt(0)
	v_mul_f64 v[25:26], v[23:24], v[9:10]
	v_mul_f64 v[5:6], v[17:18], v[5:6]
	;; [unrolled: 1-line block ×3, first 2 shown]
	v_fma_f64 v[11:12], v[17:18], v[3:4], v[11:12]
	v_fma_f64 v[17:18], v[21:22], v[7:8], v[25:26]
	v_fma_f64 v[19:20], v[19:20], v[3:4], -v[5:6]
	v_fma_f64 v[7:8], v[23:24], v[7:8], -v[9:10]
	ds_read_b128 v[3:6], v1
	s_waitcnt lgkmcnt(0)
	s_barrier
	buffer_gl0_inv
	v_add_f64 v[9:10], v[11:12], v[17:18]
	v_add_f64 v[23:24], v[3:4], v[11:12]
	v_add_f64 v[21:22], v[19:20], v[7:8]
	v_add_f64 v[25:26], v[19:20], -v[7:8]
	v_add_f64 v[19:20], v[5:6], v[19:20]
	v_add_f64 v[11:12], v[11:12], -v[17:18]
	v_fma_f64 v[9:10], v[9:10], -0.5, v[3:4]
	v_add_f64 v[3:4], v[23:24], v[17:18]
	v_fma_f64 v[21:22], v[21:22], -0.5, v[5:6]
	v_add_f64 v[5:6], v[19:20], v[7:8]
	v_fma_f64 v[7:8], v[25:26], s[0:1], v[9:10]
	v_fma_f64 v[17:18], v[25:26], s[4:5], v[9:10]
	;; [unrolled: 1-line block ×4, first 2 shown]
	v_and_b32_e32 v11, 0xffff, v28
	v_mov_b32_e32 v28, 4
	v_mul_lo_u16 v12, v30, 9
	v_mad_u32_u24 v11, 0x90, v11, 0
	v_lshlrev_b32_sdwa v21, v28, v32 dst_sel:DWORD dst_unused:UNUSED_PAD src0_sel:DWORD src1_sel:BYTE_0
	v_sub_nc_u16 v32, v16, v12
	v_add3_u32 v11, v11, v21, v29
	v_lshlrev_b32_sdwa v12, v31, v32 dst_sel:DWORD dst_unused:UNUSED_PAD src0_sel:DWORD src1_sel:BYTE_0
	ds_write_b128 v11, v[3:6]
	ds_write_b128 v11, v[7:10] offset:48
	ds_write_b128 v11, v[17:20] offset:96
	s_waitcnt lgkmcnt(0)
	s_barrier
	buffer_gl0_inv
	s_clause 0x1
	global_load_dwordx4 v[3:6], v12, s[6:7] offset:96
	global_load_dwordx4 v[7:10], v12, s[6:7] offset:112
	ds_read_b128 v[17:20], v0 offset:1296
	ds_read_b128 v[21:24], v0 offset:2592
	s_waitcnt vmcnt(1) lgkmcnt(1)
	v_mul_f64 v[11:12], v[19:20], v[5:6]
	s_waitcnt vmcnt(0) lgkmcnt(0)
	v_mul_f64 v[25:26], v[23:24], v[9:10]
	v_mul_f64 v[5:6], v[17:18], v[5:6]
	;; [unrolled: 1-line block ×3, first 2 shown]
	v_fma_f64 v[11:12], v[17:18], v[3:4], v[11:12]
	v_fma_f64 v[17:18], v[21:22], v[7:8], v[25:26]
	v_fma_f64 v[19:20], v[19:20], v[3:4], -v[5:6]
	v_fma_f64 v[7:8], v[23:24], v[7:8], -v[9:10]
	ds_read_b128 v[3:6], v1
	s_waitcnt lgkmcnt(0)
	s_barrier
	buffer_gl0_inv
	v_add_f64 v[9:10], v[11:12], v[17:18]
	v_add_f64 v[23:24], v[3:4], v[11:12]
	;; [unrolled: 1-line block ×3, first 2 shown]
	v_add_f64 v[25:26], v[19:20], -v[7:8]
	v_add_f64 v[19:20], v[5:6], v[19:20]
	v_add_f64 v[11:12], v[11:12], -v[17:18]
	v_fma_f64 v[9:10], v[9:10], -0.5, v[3:4]
	v_add_f64 v[3:4], v[23:24], v[17:18]
	v_fma_f64 v[21:22], v[21:22], -0.5, v[5:6]
	v_add_f64 v[5:6], v[19:20], v[7:8]
	v_fma_f64 v[7:8], v[25:26], s[0:1], v[9:10]
	v_fma_f64 v[17:18], v[25:26], s[4:5], v[9:10]
	;; [unrolled: 1-line block ×4, first 2 shown]
	v_lshrrev_b16 v26, 9, v27
	v_and_b32_e32 v11, 0xffff, v30
	v_lshlrev_b32_sdwa v21, v28, v32 dst_sel:DWORD dst_unused:UNUSED_PAD src0_sel:DWORD src1_sel:BYTE_0
	v_mul_lo_u16 v12, v26, 27
	v_mad_u32_u24 v11, 0x1b0, v11, 0
	v_sub_nc_u16 v27, v16, v12
	v_add3_u32 v11, v11, v21, v29
	ds_write_b128 v11, v[3:6]
	ds_write_b128 v11, v[7:10] offset:144
	ds_write_b128 v11, v[17:20] offset:288
	v_lshlrev_b32_sdwa v12, v31, v27 dst_sel:DWORD dst_unused:UNUSED_PAD src0_sel:DWORD src1_sel:BYTE_0
	s_waitcnt lgkmcnt(0)
	s_barrier
	buffer_gl0_inv
	s_clause 0x1
	global_load_dwordx4 v[3:6], v12, s[6:7] offset:384
	global_load_dwordx4 v[7:10], v12, s[6:7] offset:400
	ds_read_b128 v[16:19], v0 offset:1296
	ds_read_b128 v[20:23], v0 offset:2592
	s_waitcnt vmcnt(1) lgkmcnt(1)
	v_mul_f64 v[11:12], v[18:19], v[5:6]
	s_waitcnt vmcnt(0) lgkmcnt(0)
	v_mul_f64 v[24:25], v[22:23], v[9:10]
	v_mul_f64 v[5:6], v[16:17], v[5:6]
	;; [unrolled: 1-line block ×3, first 2 shown]
	v_fma_f64 v[11:12], v[16:17], v[3:4], v[11:12]
	v_fma_f64 v[16:17], v[20:21], v[7:8], v[24:25]
	v_fma_f64 v[18:19], v[18:19], v[3:4], -v[5:6]
	v_fma_f64 v[7:8], v[22:23], v[7:8], -v[9:10]
	ds_read_b128 v[3:6], v1
	s_waitcnt lgkmcnt(0)
	s_barrier
	buffer_gl0_inv
	v_add_f64 v[9:10], v[11:12], v[16:17]
	v_add_f64 v[22:23], v[3:4], v[11:12]
	;; [unrolled: 1-line block ×3, first 2 shown]
	v_add_f64 v[24:25], v[18:19], -v[7:8]
	v_add_f64 v[18:19], v[5:6], v[18:19]
	v_add_f64 v[11:12], v[11:12], -v[16:17]
	v_fma_f64 v[9:10], v[9:10], -0.5, v[3:4]
	v_add_f64 v[3:4], v[22:23], v[16:17]
	v_fma_f64 v[20:21], v[20:21], -0.5, v[5:6]
	v_add_f64 v[5:6], v[18:19], v[7:8]
	v_fma_f64 v[7:8], v[24:25], s[0:1], v[9:10]
	v_fma_f64 v[16:17], v[24:25], s[4:5], v[9:10]
	;; [unrolled: 1-line block ×4, first 2 shown]
	v_and_b32_e32 v11, 0xffff, v26
	v_lshlrev_b32_sdwa v12, v28, v27 dst_sel:DWORD dst_unused:UNUSED_PAD src0_sel:DWORD src1_sel:BYTE_0
	v_mad_u32_u24 v11, 0x510, v11, 0
	v_add3_u32 v11, v11, v12, v29
	ds_write_b128 v11, v[3:6]
	ds_write_b128 v11, v[7:10] offset:432
	ds_write_b128 v11, v[16:19] offset:864
	s_waitcnt lgkmcnt(0)
	s_barrier
	buffer_gl0_inv
	s_and_saveexec_b32 s10, vcc_lo
	s_cbranch_execz .LBB0_4
; %bb.3:
	s_clause 0x1
	global_load_dwordx4 v[3:6], v2, s[6:7] offset:1248
	global_load_dwordx4 v[7:10], v2, s[6:7] offset:1264
	ds_read_b128 v[16:19], v0 offset:1296
	ds_read_b128 v[20:23], v0 offset:2592
	v_add_nc_u32_e32 v32, 0x51, v13
	v_add_nc_u32_e32 v33, 0xa2, v13
	s_waitcnt vmcnt(1) lgkmcnt(1)
	v_mul_f64 v[11:12], v[5:6], v[16:17]
	s_waitcnt vmcnt(0) lgkmcnt(0)
	v_mul_f64 v[24:25], v[9:10], v[20:21]
	v_mul_f64 v[16:17], v[3:4], v[16:17]
	;; [unrolled: 1-line block ×3, first 2 shown]
	v_fma_f64 v[11:12], v[3:4], v[18:19], -v[11:12]
	v_fma_f64 v[7:8], v[7:8], v[22:23], -v[24:25]
	v_fma_f64 v[4:5], v[18:19], v[5:6], v[16:17]
	v_fma_f64 v[9:10], v[22:23], v[9:10], v[20:21]
	ds_read_b128 v[0:3], v1
	v_mad_u64_u32 v[20:21], null, s8, v13, 0
	v_mad_u64_u32 v[22:23], null, s8, v32, 0
	;; [unrolled: 1-line block ×3, first 2 shown]
	v_mov_b32_e32 v6, v21
	v_add_f64 v[16:17], v[11:12], v[7:8]
	s_waitcnt lgkmcnt(0)
	v_add_f64 v[28:29], v[2:3], v[11:12]
	v_add_f64 v[18:19], v[4:5], v[9:10]
	v_add_f64 v[26:27], v[4:5], -v[9:10]
	v_add_f64 v[4:5], v[4:5], v[0:1]
	v_add_f64 v[30:31], v[11:12], -v[7:8]
	v_fma_f64 v[11:12], v[16:17], -0.5, v[2:3]
	v_mov_b32_e32 v2, v25
	v_fma_f64 v[16:17], v[18:19], -0.5, v[0:1]
	v_mad_u64_u32 v[0:1], null, s9, v13, v[6:7]
	v_mov_b32_e32 v1, v23
	v_mad_u64_u32 v[18:19], null, s9, v32, v[1:2]
	v_mad_u64_u32 v[1:2], null, s9, v33, v[2:3]
	v_mov_b32_e32 v21, v0
	v_add_f64 v[2:3], v[28:29], v[7:8]
	v_mov_b32_e32 v23, v18
	v_lshlrev_b64 v[19:20], 4, v[20:21]
	v_mov_b32_e32 v25, v1
	v_add_f64 v[0:1], v[9:10], v[4:5]
	v_fma_f64 v[6:7], v[26:27], s[0:1], v[11:12]
	v_fma_f64 v[10:11], v[26:27], s[4:5], v[11:12]
	;; [unrolled: 1-line block ×4, first 2 shown]
	v_add_co_u32 v18, vcc_lo, s2, v14
	v_add_co_ci_u32_e32 v21, vcc_lo, s3, v15, vcc_lo
	v_lshlrev_b64 v[12:13], 4, v[22:23]
	v_lshlrev_b64 v[14:15], 4, v[24:25]
	v_add_co_u32 v16, vcc_lo, v18, v19
	v_add_co_ci_u32_e32 v17, vcc_lo, v21, v20, vcc_lo
	v_add_co_u32 v12, vcc_lo, v18, v12
	v_add_co_ci_u32_e32 v13, vcc_lo, v21, v13, vcc_lo
	;; [unrolled: 2-line block ×3, first 2 shown]
	global_store_dwordx4 v[16:17], v[0:3], off
	global_store_dwordx4 v[12:13], v[8:11], off
	global_store_dwordx4 v[14:15], v[4:7], off
.LBB0_4:
	s_endpgm
	.section	.rodata,"a",@progbits
	.p2align	6, 0x0
	.amdhsa_kernel fft_rtc_back_len243_factors_3_3_3_3_3_wgs_243_tpt_81_dim1_dp_ip_CI_sbrr_dirReg
		.amdhsa_group_segment_fixed_size 0
		.amdhsa_private_segment_fixed_size 0
		.amdhsa_kernarg_size 80
		.amdhsa_user_sgpr_count 6
		.amdhsa_user_sgpr_private_segment_buffer 1
		.amdhsa_user_sgpr_dispatch_ptr 0
		.amdhsa_user_sgpr_queue_ptr 0
		.amdhsa_user_sgpr_kernarg_segment_ptr 1
		.amdhsa_user_sgpr_dispatch_id 0
		.amdhsa_user_sgpr_flat_scratch_init 0
		.amdhsa_user_sgpr_private_segment_size 0
		.amdhsa_wavefront_size32 1
		.amdhsa_uses_dynamic_stack 0
		.amdhsa_system_sgpr_private_segment_wavefront_offset 0
		.amdhsa_system_sgpr_workgroup_id_x 1
		.amdhsa_system_sgpr_workgroup_id_y 0
		.amdhsa_system_sgpr_workgroup_id_z 0
		.amdhsa_system_sgpr_workgroup_info 0
		.amdhsa_system_vgpr_workitem_id 0
		.amdhsa_next_free_vgpr 34
		.amdhsa_next_free_sgpr 16
		.amdhsa_reserve_vcc 1
		.amdhsa_reserve_flat_scratch 0
		.amdhsa_float_round_mode_32 0
		.amdhsa_float_round_mode_16_64 0
		.amdhsa_float_denorm_mode_32 3
		.amdhsa_float_denorm_mode_16_64 3
		.amdhsa_dx10_clamp 1
		.amdhsa_ieee_mode 1
		.amdhsa_fp16_overflow 0
		.amdhsa_workgroup_processor_mode 1
		.amdhsa_memory_ordered 1
		.amdhsa_forward_progress 0
		.amdhsa_shared_vgpr_count 0
		.amdhsa_exception_fp_ieee_invalid_op 0
		.amdhsa_exception_fp_denorm_src 0
		.amdhsa_exception_fp_ieee_div_zero 0
		.amdhsa_exception_fp_ieee_overflow 0
		.amdhsa_exception_fp_ieee_underflow 0
		.amdhsa_exception_fp_ieee_inexact 0
		.amdhsa_exception_int_div_zero 0
	.end_amdhsa_kernel
	.text
.Lfunc_end0:
	.size	fft_rtc_back_len243_factors_3_3_3_3_3_wgs_243_tpt_81_dim1_dp_ip_CI_sbrr_dirReg, .Lfunc_end0-fft_rtc_back_len243_factors_3_3_3_3_3_wgs_243_tpt_81_dim1_dp_ip_CI_sbrr_dirReg
                                        ; -- End function
	.section	.AMDGPU.csdata,"",@progbits
; Kernel info:
; codeLenInByte = 2120
; NumSgprs: 18
; NumVgprs: 34
; ScratchSize: 0
; MemoryBound: 1
; FloatMode: 240
; IeeeMode: 1
; LDSByteSize: 0 bytes/workgroup (compile time only)
; SGPRBlocks: 2
; VGPRBlocks: 4
; NumSGPRsForWavesPerEU: 18
; NumVGPRsForWavesPerEU: 34
; Occupancy: 16
; WaveLimiterHint : 1
; COMPUTE_PGM_RSRC2:SCRATCH_EN: 0
; COMPUTE_PGM_RSRC2:USER_SGPR: 6
; COMPUTE_PGM_RSRC2:TRAP_HANDLER: 0
; COMPUTE_PGM_RSRC2:TGID_X_EN: 1
; COMPUTE_PGM_RSRC2:TGID_Y_EN: 0
; COMPUTE_PGM_RSRC2:TGID_Z_EN: 0
; COMPUTE_PGM_RSRC2:TIDIG_COMP_CNT: 0
	.text
	.p2alignl 6, 3214868480
	.fill 48, 4, 3214868480
	.type	__hip_cuid_25b86fa95b0c7f38,@object ; @__hip_cuid_25b86fa95b0c7f38
	.section	.bss,"aw",@nobits
	.globl	__hip_cuid_25b86fa95b0c7f38
__hip_cuid_25b86fa95b0c7f38:
	.byte	0                               ; 0x0
	.size	__hip_cuid_25b86fa95b0c7f38, 1

	.ident	"AMD clang version 19.0.0git (https://github.com/RadeonOpenCompute/llvm-project roc-6.4.0 25133 c7fe45cf4b819c5991fe208aaa96edf142730f1d)"
	.section	".note.GNU-stack","",@progbits
	.addrsig
	.addrsig_sym __hip_cuid_25b86fa95b0c7f38
	.amdgpu_metadata
---
amdhsa.kernels:
  - .args:
      - .actual_access:  read_only
        .address_space:  global
        .offset:         0
        .size:           8
        .value_kind:     global_buffer
      - .actual_access:  read_only
        .address_space:  global
        .offset:         8
        .size:           8
        .value_kind:     global_buffer
      - .actual_access:  read_only
        .address_space:  global
        .offset:         16
        .size:           8
        .value_kind:     global_buffer
      - .offset:         24
        .size:           8
        .value_kind:     by_value
      - .actual_access:  read_only
        .address_space:  global
        .offset:         32
        .size:           8
        .value_kind:     global_buffer
      - .actual_access:  read_only
        .address_space:  global
        .offset:         40
        .size:           8
        .value_kind:     global_buffer
      - .offset:         48
        .size:           4
        .value_kind:     by_value
      - .actual_access:  read_only
        .address_space:  global
        .offset:         56
        .size:           8
        .value_kind:     global_buffer
      - .actual_access:  read_only
        .address_space:  global
        .offset:         64
        .size:           8
        .value_kind:     global_buffer
      - .address_space:  global
        .offset:         72
        .size:           8
        .value_kind:     global_buffer
    .group_segment_fixed_size: 0
    .kernarg_segment_align: 8
    .kernarg_segment_size: 80
    .language:       OpenCL C
    .language_version:
      - 2
      - 0
    .max_flat_workgroup_size: 243
    .name:           fft_rtc_back_len243_factors_3_3_3_3_3_wgs_243_tpt_81_dim1_dp_ip_CI_sbrr_dirReg
    .private_segment_fixed_size: 0
    .sgpr_count:     18
    .sgpr_spill_count: 0
    .symbol:         fft_rtc_back_len243_factors_3_3_3_3_3_wgs_243_tpt_81_dim1_dp_ip_CI_sbrr_dirReg.kd
    .uniform_work_group_size: 1
    .uses_dynamic_stack: false
    .vgpr_count:     34
    .vgpr_spill_count: 0
    .wavefront_size: 32
    .workgroup_processor_mode: 1
amdhsa.target:   amdgcn-amd-amdhsa--gfx1030
amdhsa.version:
  - 1
  - 2
...

	.end_amdgpu_metadata
